;; amdgpu-corpus repo=ROCm/rocFFT kind=compiled arch=gfx1030 opt=O3
	.text
	.amdgcn_target "amdgcn-amd-amdhsa--gfx1030"
	.amdhsa_code_object_version 6
	.protected	bluestein_single_back_len11_dim1_dp_op_CI_CI ; -- Begin function bluestein_single_back_len11_dim1_dp_op_CI_CI
	.globl	bluestein_single_back_len11_dim1_dp_op_CI_CI
	.p2align	8
	.type	bluestein_single_back_len11_dim1_dp_op_CI_CI,@function
bluestein_single_back_len11_dim1_dp_op_CI_CI: ; @bluestein_single_back_len11_dim1_dp_op_CI_CI
; %bb.0:
	s_load_dwordx4 s[8:11], s[4:5], 0x28
	v_lshl_or_b32 v44, s6, 7, v0
	v_mov_b32_e32 v45, 0
	s_mov_b32 s0, exec_lo
	s_waitcnt lgkmcnt(0)
	v_cmpx_gt_u64_e64 s[8:9], v[44:45]
	s_cbranch_execz .LBB0_2
; %bb.1:
	s_clause 0x1
	s_load_dwordx4 s[0:3], s[4:5], 0x18
	s_load_dwordx2 s[24:25], s[4:5], 0x0
                                        ; implicit-def: $vgpr252 : SGPR spill to VGPR lane
	v_mul_u32_u24_e32 v61, 0xb0, v0
	v_writelane_b32 v252, s4, 0
	s_mov_b32 s26, 0xf8bb580b
	s_mov_b32 s27, 0xbfe14ced
	;; [unrolled: 1-line block ×4, first 2 shown]
	v_writelane_b32 v252, s5, 1
	s_mov_b32 s30, 0x43842ef
	s_mov_b32 s31, 0xbfefac9e
	;; [unrolled: 1-line block ×11, first 2 shown]
	s_waitcnt lgkmcnt(0)
	s_load_dwordx4 s[4:7], s[0:1], 0x0
	s_mov_b32 s97, 0x3fd207e7
	s_mov_b32 s89, 0x3fefac9e
	;; [unrolled: 1-line block ×8, first 2 shown]
	s_waitcnt lgkmcnt(0)
	v_mad_u64_u32 v[1:2], null, s6, v44, 0
	s_lshl_b64 s[0:1], s[4:5], 4
	s_lshl_b64 s[8:9], s[4:5], 6
	v_mad_u64_u32 v[2:3], null, s7, v44, v[2:3]
	s_lshl_b64 s[6:7], s[4:5], 5
	v_lshlrev_b64 v[1:2], 4, v[1:2]
	v_add_co_u32 v1, vcc_lo, s10, v1
	v_add_co_ci_u32_e32 v2, vcc_lo, s11, v2, vcc_lo
	s_lshl_b64 s[10:11], s[4:5], 7
	v_add_co_u32 v5, vcc_lo, v1, s0
	v_mad_u64_u32 v[21:22], null, s4, 48, v[1:2]
	v_mad_u64_u32 v[25:26], null, 0x50, s4, v[1:2]
	;; [unrolled: 1-line block ×6, first 2 shown]
	v_mov_b32_e32 v19, v22
	v_mov_b32_e32 v20, v26
	v_add_co_ci_u32_e32 v6, vcc_lo, s1, v2, vcc_lo
	v_mov_b32_e32 v22, v30
	v_mov_b32_e32 v23, v34
	v_mad_u64_u32 v[27:28], null, s5, 48, v[19:20]
	v_add_co_u32 v9, vcc_lo, v1, s6
	v_mov_b32_e32 v24, v38
	v_mad_u64_u32 v[19:20], null, 0x50, s5, v[20:21]
	v_add_co_ci_u32_e32 v10, vcc_lo, s7, v2, vcc_lo
	v_mov_b32_e32 v26, v42
	v_add_co_u32 v13, vcc_lo, v1, s8
	v_mad_u64_u32 v[30:31], null, 0x60, s5, v[22:23]
	v_add_co_ci_u32_e32 v14, vcc_lo, s9, v2, vcc_lo
	v_mad_u64_u32 v[31:32], null, 0x70, s5, v[23:24]
	v_add_co_u32 v17, vcc_lo, v1, s10
	v_mad_u64_u32 v[35:36], null, 0x90, s5, v[24:25]
	v_mad_u64_u32 v[39:40], null, 0xa0, s5, v[26:27]
	v_add_co_ci_u32_e32 v18, vcc_lo, s11, v2, vcc_lo
	v_mov_b32_e32 v22, v27
	v_mov_b32_e32 v26, v19
	s_clause 0x5
	global_load_dwordx4 v[1:4], v[1:2], off
	global_load_dwordx4 v[5:8], v[5:6], off
	;; [unrolled: 1-line block ×6, first 2 shown]
	v_mov_b32_e32 v34, v31
	s_clause 0x1
	global_load_dwordx4 v[25:28], v[25:26], off
	global_load_dwordx4 v[29:32], v[29:30], off
	v_mov_b32_e32 v38, v35
	v_mov_b32_e32 v42, v39
	s_clause 0x2
	global_load_dwordx4 v[33:36], v[33:34], off
	global_load_dwordx4 v[37:40], v[37:38], off
	;; [unrolled: 1-line block ×3, first 2 shown]
	s_clause 0x2
	s_load_dwordx16 s[52:67], s[24:25], 0x0
	s_load_dwordx16 s[36:51], s[24:25], 0x40
	s_load_dwordx16 s[8:23], s[24:25], 0x80
	s_load_dwordx4 s[0:3], s[2:3], 0x0
	s_mov_b32 s6, 0xfd768dbf
	s_mov_b32 s7, 0xbfd207e7
	;; [unrolled: 1-line block ×5, first 2 shown]
	s_waitcnt vmcnt(10) lgkmcnt(0)
	v_mul_f64 v[41:42], v[3:4], s[54:55]
	v_mul_f64 v[49:50], v[1:2], s[54:55]
	s_waitcnt vmcnt(9)
	v_mul_f64 v[51:52], v[7:8], s[58:59]
	v_mul_f64 v[53:54], v[5:6], s[58:59]
	s_waitcnt vmcnt(8)
	;; [unrolled: 3-line block ×10, first 2 shown]
	v_mul_f64 v[88:89], v[47:48], s[18:19]
	v_mul_f64 v[90:91], v[45:46], s[18:19]
	v_fma_f64 v[0:1], v[1:2], s[52:53], v[41:42]
	v_fma_f64 v[2:3], v[3:4], s[52:53], -v[49:50]
	v_fma_f64 v[4:5], v[5:6], s[56:57], v[51:52]
	v_fma_f64 v[6:7], v[7:8], s[56:57], -v[53:54]
	;; [unrolled: 2-line block ×11, first 2 shown]
	ds_write_b128 v61, v[0:3]
	ds_write_b128 v61, v[4:7] offset:16
	ds_write_b128 v61, v[8:11] offset:32
	;; [unrolled: 1-line block ×10, first 2 shown]
	s_waitcnt lgkmcnt(0)
	s_barrier
	buffer_gl0_inv
	ds_read_b128 v[8:11], v61
	ds_read_b128 v[36:39], v61 offset:16
	ds_read_b128 v[0:3], v61 offset:160
	;; [unrolled: 1-line block ×10, first 2 shown]
	s_waitcnt lgkmcnt(9)
	v_add_f64 v[62:63], v[8:9], v[36:37]
	v_add_f64 v[64:65], v[10:11], v[38:39]
	s_waitcnt lgkmcnt(6)
	v_add_f64 v[42:43], v[57:58], v[4:5]
	v_add_f64 v[45:46], v[59:60], v[6:7]
	v_add_f64 v[70:71], v[57:58], -v[4:5]
	v_add_f64 v[72:73], v[59:60], -v[6:7]
	;; [unrolled: 1-line block ×4, first 2 shown]
	v_add_f64 v[49:50], v[36:37], v[0:1]
	v_add_f64 v[51:52], v[38:39], v[2:3]
	s_waitcnt lgkmcnt(4)
	v_add_f64 v[38:39], v[32:33], v[12:13]
	v_add_f64 v[36:37], v[34:35], v[14:15]
	v_add_f64 v[74:75], v[32:33], -v[12:13]
	v_add_f64 v[76:77], v[34:35], -v[14:15]
	s_waitcnt lgkmcnt(2)
	v_add_f64 v[78:79], v[28:29], -v[16:17]
	v_add_f64 v[80:81], v[30:31], -v[18:19]
	s_waitcnt lgkmcnt(0)
	v_add_f64 v[82:83], v[24:25], -v[20:21]
	v_add_f64 v[84:85], v[26:27], -v[22:23]
	v_add_f64 v[47:48], v[28:29], v[16:17]
	v_add_f64 v[40:41], v[30:31], v[18:19]
	v_add_f64 v[55:56], v[24:25], v[20:21]
	v_add_f64 v[53:54], v[26:27], v[22:23]
	v_add_f64 v[57:58], v[62:63], v[57:58]
	v_add_f64 v[59:60], v[64:65], v[59:60]
	v_mul_f64 v[100:101], v[70:71], s[28:29]
	v_mul_f64 v[98:99], v[72:73], s[28:29]
	;; [unrolled: 1-line block ×18, first 2 shown]
	v_add_f64 v[32:33], v[57:58], v[32:33]
	v_add_f64 v[34:35], v[59:60], v[34:35]
	v_mul_f64 v[72:73], v[72:73], s[4:5]
	v_mul_f64 v[70:71], v[70:71], s[4:5]
	;; [unrolled: 1-line block ×4, first 2 shown]
	v_fma_f64 v[57:58], v[49:50], s[34:35], -v[62:63]
	v_fma_f64 v[59:60], v[51:52], s[34:35], v[64:65]
	v_fma_f64 v[62:63], v[49:50], s[34:35], v[62:63]
	v_fma_f64 v[64:65], v[51:52], s[34:35], -v[64:65]
	v_fma_f64 v[162:163], v[49:50], s[86:87], -v[86:87]
	v_fma_f64 v[164:165], v[51:52], s[86:87], v[88:89]
	v_mul_f64 v[118:119], v[76:77], s[96:97]
	v_mul_f64 v[120:121], v[74:75], s[96:97]
	;; [unrolled: 1-line block ×10, first 2 shown]
	v_add_f64 v[28:29], v[32:33], v[28:29]
	v_add_f64 v[30:31], v[34:35], v[30:31]
	v_mul_f64 v[134:135], v[80:81], s[88:89]
	v_mul_f64 v[136:137], v[78:79], s[88:89]
	;; [unrolled: 1-line block ×18, first 2 shown]
	v_fma_f64 v[86:87], v[49:50], s[86:87], v[86:87]
	v_fma_f64 v[166:167], v[49:50], s[90:91], -v[90:91]
	v_fma_f64 v[168:169], v[51:52], s[90:91], v[92:93]
	v_fma_f64 v[170:171], v[49:50], s[94:95], -v[94:95]
	v_fma_f64 v[172:173], v[51:52], s[94:95], v[96:97]
	v_fma_f64 v[90:91], v[49:50], s[90:91], v[90:91]
	;; [unrolled: 1-line block ×3, first 2 shown]
	v_fma_f64 v[174:175], v[49:50], s[98:99], -v[66:67]
	v_fma_f64 v[176:177], v[51:52], s[98:99], v[68:69]
	v_fma_f64 v[88:89], v[51:52], s[86:87], -v[88:89]
	v_fma_f64 v[92:93], v[51:52], s[90:91], -v[92:93]
	v_fma_f64 v[96:97], v[51:52], s[94:95], -v[96:97]
	v_fma_f64 v[49:50], v[49:50], s[98:99], v[66:67]
	v_fma_f64 v[51:52], v[51:52], s[98:99], -v[68:69]
	v_add_f64 v[24:25], v[28:29], v[24:25]
	v_add_f64 v[26:27], v[30:31], v[26:27]
	v_fma_f64 v[66:67], v[42:43], s[86:87], -v[98:99]
	v_fma_f64 v[68:69], v[45:46], s[86:87], v[100:101]
	v_add_f64 v[28:29], v[8:9], v[57:58]
	v_add_f64 v[30:31], v[10:11], v[59:60]
	v_fma_f64 v[98:99], v[42:43], s[86:87], v[98:99]
	v_fma_f64 v[100:101], v[45:46], s[86:87], -v[100:101]
	v_fma_f64 v[178:179], v[42:43], s[94:95], -v[102:103]
	v_fma_f64 v[180:181], v[45:46], s[94:95], v[104:105]
	v_add_f64 v[57:58], v[8:9], v[62:63]
	v_add_f64 v[59:60], v[10:11], v[64:65]
	;; [unrolled: 1-line block ×4, first 2 shown]
	v_fma_f64 v[102:103], v[42:43], s[94:95], v[102:103]
	v_fma_f64 v[104:105], v[45:46], s[94:95], -v[104:105]
	v_fma_f64 v[182:183], v[42:43], s[98:99], -v[106:107]
	v_fma_f64 v[184:185], v[45:46], s[98:99], v[108:109]
	v_fma_f64 v[106:107], v[42:43], s[98:99], v[106:107]
	v_fma_f64 v[108:109], v[45:46], s[98:99], -v[108:109]
	v_fma_f64 v[186:187], v[42:43], s[90:91], -v[110:111]
	v_fma_f64 v[188:189], v[45:46], s[90:91], v[112:113]
	;; [unrolled: 4-line block ×9, first 2 shown]
	v_fma_f64 v[208:209], v[47:48], s[90:91], -v[134:135]
	v_fma_f64 v[134:135], v[47:48], s[90:91], v[134:135]
	v_fma_f64 v[210:211], v[47:48], s[34:35], -v[138:139]
	v_fma_f64 v[138:139], v[47:48], s[34:35], v[138:139]
	;; [unrolled: 2-line block ×4, first 2 shown]
	v_fma_f64 v[80:81], v[40:41], s[94:95], v[132:133]
	v_fma_f64 v[132:133], v[40:41], s[94:95], -v[132:133]
	v_fma_f64 v[216:217], v[40:41], s[90:91], v[136:137]
	v_fma_f64 v[136:137], v[40:41], s[90:91], -v[136:137]
	;; [unrolled: 2-line block ×5, first 2 shown]
	v_fma_f64 v[32:33], v[55:56], s[98:99], -v[146:147]
	v_fma_f64 v[34:35], v[55:56], s[98:99], v[146:147]
	v_fma_f64 v[78:79], v[55:56], s[34:35], -v[148:149]
	v_fma_f64 v[146:147], v[55:56], s[34:35], v[148:149]
	;; [unrolled: 2-line block ×5, first 2 shown]
	v_fma_f64 v[84:85], v[53:54], s[98:99], v[154:155]
	v_fma_f64 v[154:155], v[53:54], s[98:99], -v[154:155]
	v_fma_f64 v[228:229], v[53:54], s[34:35], v[156:157]
	v_fma_f64 v[156:157], v[53:54], s[34:35], -v[156:157]
	;; [unrolled: 2-line block ×5, first 2 shown]
	v_add_f64 v[82:83], v[8:9], v[86:87]
	v_add_f64 v[86:87], v[8:9], v[166:167]
	;; [unrolled: 1-line block ×104, first 2 shown]
	ds_write_b128 v61, v[4:7] offset:16
	ds_write_b128 v61, v[12:15] offset:32
	;; [unrolled: 1-line block ×10, first 2 shown]
	ds_write_b128 v61, v[0:3]
	s_waitcnt lgkmcnt(0)
	s_barrier
	buffer_gl0_inv
	ds_read_b128 v[4:7], v61 offset:32
	ds_read_b128 v[8:11], v61 offset:48
	;; [unrolled: 1-line block ×5, first 2 shown]
	ds_read_b128 v[32:35], v61
	s_load_dwordx16 s[68:83], s[24:25], 0xc0
	s_waitcnt lgkmcnt(0)
	v_mul_f64 v[57:58], v[32:33], s[22:23]
	v_mul_f64 v[20:21], v[2:3], s[70:71]
	v_mul_f64 v[22:23], v[0:1], s[70:71]
	v_mul_f64 v[24:25], v[6:7], s[74:75]
	v_mul_f64 v[26:27], v[4:5], s[74:75]
	v_mul_f64 v[28:29], v[10:11], s[78:79]
	v_mul_f64 v[30:31], v[8:9], s[78:79]
	v_mul_f64 v[36:37], v[14:15], s[82:83]
	v_mul_f64 v[38:39], v[12:13], s[82:83]
	v_fma_f64 v[57:58], v[34:35], s[20:21], v[57:58]
	v_fma_f64 v[0:1], v[0:1], s[68:69], -v[20:21]
	v_fma_f64 v[2:3], v[2:3], s[68:69], v[22:23]
	v_fma_f64 v[4:5], v[4:5], s[72:73], -v[24:25]
	;; [unrolled: 2-line block ×4, first 2 shown]
	v_fma_f64 v[14:15], v[14:15], s[80:81], v[38:39]
	ds_read_b128 v[20:23], v61 offset:96
	ds_read_b128 v[24:27], v61 offset:112
	;; [unrolled: 1-line block ×4, first 2 shown]
	s_clause 0x1
	s_load_dwordx16 s[68:83], s[24:25], 0x100
	s_load_dwordx8 s[24:31], s[24:25], 0x140
	s_waitcnt lgkmcnt(0)
	v_mul_f64 v[40:41], v[18:19], s[70:71]
	v_mul_f64 v[42:43], v[16:17], s[70:71]
	v_mul_f64 v[47:48], v[20:21], s[74:75]
	v_mul_f64 v[55:56], v[28:29], s[82:83]
	v_mul_f64 v[49:50], v[26:27], s[78:79]
	v_mul_f64 v[45:46], v[22:23], s[74:75]
	v_mul_f64 v[51:52], v[24:25], s[78:79]
	v_mul_f64 v[53:54], v[30:31], s[82:83]
	v_fma_f64 v[16:17], v[16:17], s[68:69], -v[40:41]
	v_fma_f64 v[18:19], v[18:19], s[68:69], v[42:43]
	ds_read_b128 v[40:43], v61 offset:160
	v_fma_f64 v[22:23], v[22:23], s[72:73], v[47:48]
	v_mul_f64 v[47:48], v[38:39], s[26:27]
	v_fma_f64 v[30:31], v[30:31], s[80:81], v[55:56]
	v_mul_f64 v[55:56], v[34:35], s[22:23]
	v_fma_f64 v[24:25], v[24:25], s[76:77], -v[49:50]
	v_mul_f64 v[49:50], v[36:37], s[26:27]
	v_fma_f64 v[20:21], v[20:21], s[72:73], -v[45:46]
	v_fma_f64 v[26:27], v[26:27], s[76:77], v[51:52]
	v_fma_f64 v[28:29], v[28:29], s[80:81], -v[53:54]
	v_mad_u64_u32 v[45:46], null, s2, v44, 0
	s_mov_b32 s26, 0x745d1746
	s_mov_b32 s27, 0x3fb745d1
	s_waitcnt lgkmcnt(0)
	v_mul_f64 v[51:52], v[42:43], s[30:31]
	v_mul_f64 v[53:54], v[40:41], s[30:31]
	s_lshl_b64 s[30:31], s[0:1], 4
	v_mad_u64_u32 v[59:60], null, s3, v44, v[46:47]
	v_fma_f64 v[55:56], v[32:33], s[20:21], -v[55:56]
	v_readlane_b32 s2, v252, 0
	v_readlane_b32 s3, v252, 1
	s_lshl_b64 s[20:21], s[0:1], 7
	v_mov_b32_e32 v46, v59
	s_load_dwordx2 s[22:23], s[2:3], 0x38
	s_mov_b32 s3, 0x3fe82f19
	s_mov_b32 s2, s92
	v_lshlrev_b64 v[32:33], 4, v[45:46]
	v_fma_f64 v[44:45], v[36:37], s[24:25], -v[47:48]
	v_fma_f64 v[46:47], v[38:39], s[24:25], v[49:50]
	s_lshl_b64 s[24:25], s[0:1], 6
	v_fma_f64 v[38:39], v[40:41], s[28:29], -v[51:52]
	v_fma_f64 v[40:41], v[42:43], s[28:29], v[53:54]
	ds_write_b128 v61, v[55:58]
	ds_write_b128 v61, v[0:3] offset:16
	ds_write_b128 v61, v[4:7] offset:32
	ds_write_b128 v61, v[8:11] offset:48
	ds_write_b128 v61, v[12:15] offset:64
	ds_write_b128 v61, v[16:19] offset:80
	ds_write_b128 v61, v[20:23] offset:96
	ds_write_b128 v61, v[24:27] offset:112
	ds_write_b128 v61, v[28:31] offset:128
	ds_write_b128 v61, v[44:47] offset:144
	ds_write_b128 v61, v[38:41] offset:160
	s_waitcnt lgkmcnt(0)
	s_barrier
	buffer_gl0_inv
	ds_read_b128 v[10:13], v61
	ds_read_b128 v[14:17], v61 offset:16
	ds_read_b128 v[18:21], v61 offset:160
	;; [unrolled: 1-line block ×10, first 2 shown]
	v_add_co_u32 v32, vcc_lo, s22, v32
	v_add_co_ci_u32_e32 v33, vcc_lo, s23, v33, vcc_lo
	s_lshl_b64 s[28:29], s[0:1], 5
	v_add_co_u32 v34, vcc_lo, v32, s30
	v_add_co_ci_u32_e32 v35, vcc_lo, s31, v33, vcc_lo
	v_add_co_u32 v36, vcc_lo, v32, s28
	s_mov_b32 s22, 0xf8bb580b
	v_add_co_ci_u32_e32 v37, vcc_lo, s29, v33, vcc_lo
	s_waitcnt lgkmcnt(9)
	v_add_f64 v[30:31], v[10:11], v[14:15]
	v_add_f64 v[58:59], v[12:13], v[16:17]
	s_waitcnt lgkmcnt(6)
	v_add_f64 v[70:71], v[22:23], v[26:27]
	v_add_f64 v[72:73], v[24:25], v[28:29]
	v_add_f64 v[74:75], v[22:23], -v[26:27]
	v_add_f64 v[76:77], v[24:25], -v[28:29]
	;; [unrolled: 1-line block ×3, first 2 shown]
	v_add_f64 v[16:17], v[16:17], v[20:21]
	s_mov_b32 s23, 0xbfe14ced
	s_mov_b32 s28, 0x8eee2c13
	;; [unrolled: 1-line block ×4, first 2 shown]
	v_add_f64 v[68:69], v[14:15], v[18:19]
	v_add_f64 v[14:15], v[14:15], -v[18:19]
	s_mov_b32 s31, 0xbfefac9e
	s_waitcnt lgkmcnt(4)
	v_add_f64 v[80:81], v[44:45], v[40:41]
	v_add_f64 v[84:85], v[44:45], -v[40:41]
	s_waitcnt lgkmcnt(2)
	v_add_f64 v[88:89], v[48:49], v[52:53]
	v_add_f64 v[92:93], v[48:49], -v[52:53]
	;; [unrolled: 3-line block ×3, first 2 shown]
	v_add_f64 v[78:79], v[42:43], v[38:39]
	v_add_f64 v[22:23], v[30:31], v[22:23]
	v_add_f64 v[24:25], v[58:59], v[24:25]
	v_add_f64 v[82:83], v[42:43], -v[38:39]
	v_mul_f64 v[116:117], v[72:73], s[86:87]
	v_mul_f64 v[120:121], v[72:73], s[94:95]
	;; [unrolled: 1-line block ×14, first 2 shown]
	v_add_f64 v[86:87], v[46:47], v[50:51]
	v_add_f64 v[90:91], v[46:47], -v[50:51]
	v_add_f64 v[94:95], v[62:63], v[54:55]
	v_add_f64 v[98:99], v[62:63], -v[54:55]
	v_mul_f64 v[122:123], v[76:77], s[96:97]
	v_add_f64 v[22:23], v[22:23], v[42:43]
	v_add_f64 v[24:25], v[24:25], v[44:45]
	v_mul_f64 v[124:125], v[72:73], s[98:99]
	v_mul_f64 v[126:127], v[76:77], s[88:89]
	;; [unrolled: 1-line block ×4, first 2 shown]
	v_fma_f64 v[42:43], v[68:69], s[34:35], v[30:31]
	v_fma_f64 v[44:45], v[14:15], s[4:5], v[58:59]
	;; [unrolled: 1-line block ×5, first 2 shown]
	v_mul_f64 v[72:73], v[72:73], s[34:35]
	v_mul_f64 v[130:131], v[84:85], s[30:31]
	;; [unrolled: 1-line block ×11, first 2 shown]
	v_add_f64 v[22:23], v[22:23], v[46:47]
	v_add_f64 v[24:25], v[24:25], v[48:49]
	v_mul_f64 v[146:147], v[92:93], s[92:93]
	v_mul_f64 v[148:149], v[88:89], s[94:95]
	;; [unrolled: 1-line block ×20, first 2 shown]
	v_fma_f64 v[102:103], v[68:69], s[86:87], -v[102:103]
	v_fma_f64 v[182:183], v[68:69], s[90:91], v[106:107]
	v_fma_f64 v[184:185], v[14:15], s[88:89], v[108:109]
	v_fma_f64 v[30:31], v[68:69], s[34:35], -v[30:31]
	v_fma_f64 v[106:107], v[68:69], s[90:91], -v[106:107]
	v_fma_f64 v[186:187], v[68:69], s[94:95], v[110:111]
	v_fma_f64 v[188:189], v[14:15], s[2:3], v[112:113]
	v_fma_f64 v[110:111], v[68:69], s[94:95], -v[110:111]
	v_fma_f64 v[190:191], v[68:69], s[98:99], v[66:67]
	v_fma_f64 v[192:193], v[14:15], s[96:97], v[16:17]
	;; [unrolled: 1-line block ×5, first 2 shown]
	v_fma_f64 v[66:67], v[68:69], s[98:99], -v[66:67]
	v_fma_f64 v[14:15], v[14:15], s[6:7], v[16:17]
	v_add_f64 v[22:23], v[22:23], v[62:63]
	v_add_f64 v[24:25], v[24:25], v[64:65]
	v_fma_f64 v[16:17], v[70:71], s[86:87], v[114:115]
	v_fma_f64 v[68:69], v[74:75], s[84:85], v[116:117]
	v_add_f64 v[42:43], v[10:11], v[42:43]
	v_add_f64 v[44:45], v[12:13], v[44:45]
	v_fma_f64 v[116:117], v[74:75], s[28:29], v[116:117]
	v_fma_f64 v[194:195], v[70:71], s[94:95], v[118:119]
	;; [unrolled: 1-line block ×3, first 2 shown]
	v_add_f64 v[58:59], v[12:13], v[58:59]
	v_add_f64 v[62:63], v[10:11], v[178:179]
	;; [unrolled: 1-line block ×3, first 2 shown]
	v_fma_f64 v[114:115], v[70:71], s[86:87], -v[114:115]
	v_fma_f64 v[118:119], v[70:71], s[94:95], -v[118:119]
	v_fma_f64 v[120:121], v[74:75], s[92:93], v[120:121]
	v_fma_f64 v[198:199], v[70:71], s[98:99], v[122:123]
	v_fma_f64 v[200:201], v[74:75], s[6:7], v[124:125]
	v_fma_f64 v[122:123], v[70:71], s[98:99], -v[122:123]
	v_fma_f64 v[124:125], v[74:75], s[96:97], v[124:125]
	v_fma_f64 v[202:203], v[70:71], s[90:91], v[126:127]
	v_fma_f64 v[204:205], v[74:75], s[30:31], v[128:129]
	;; [unrolled: 4-line block ×7, first 2 shown]
	v_fma_f64 v[142:143], v[78:79], s[34:35], -v[142:143]
	v_fma_f64 v[144:145], v[82:83], s[22:23], v[144:145]
	v_fma_f64 v[222:223], v[78:79], s[94:95], v[84:85]
	v_fma_f64 v[78:79], v[78:79], s[94:95], -v[84:85]
	v_fma_f64 v[84:85], v[82:83], s[2:3], v[80:81]
	v_fma_f64 v[80:81], v[82:83], s[92:93], v[80:81]
	;; [unrolled: 1-line block ×3, first 2 shown]
	v_fma_f64 v[146:147], v[86:87], s[94:95], -v[146:147]
	v_fma_f64 v[224:225], v[86:87], s[90:91], v[150:151]
	v_fma_f64 v[150:151], v[86:87], s[90:91], -v[150:151]
	v_fma_f64 v[226:227], v[86:87], s[34:35], v[154:155]
	;; [unrolled: 2-line block ×5, first 2 shown]
	v_fma_f64 v[148:149], v[90:91], s[92:93], v[148:149]
	v_fma_f64 v[232:233], v[90:91], s[30:31], v[152:153]
	;; [unrolled: 1-line block ×10, first 2 shown]
	v_fma_f64 v[48:49], v[94:95], s[98:99], -v[162:163]
	v_fma_f64 v[90:91], v[94:95], s[34:35], v[164:165]
	v_fma_f64 v[162:163], v[94:95], s[34:35], -v[164:165]
	v_fma_f64 v[164:165], v[94:95], s[94:95], v[166:167]
	;; [unrolled: 2-line block ×5, first 2 shown]
	v_fma_f64 v[170:171], v[98:99], s[6:7], v[170:171]
	v_fma_f64 v[244:245], v[98:99], s[22:23], v[172:173]
	;; [unrolled: 1-line block ×9, first 2 shown]
	v_add_f64 v[98:99], v[10:11], v[102:103]
	v_add_f64 v[102:103], v[10:11], v[182:183]
	;; [unrolled: 1-line block ×105, first 2 shown]
	v_mad_u64_u32 v[8:9], null, 0x90, s0, v[32:33]
	ds_write_b128 v61, v[10:13] offset:16
	ds_write_b128 v61, v[22:25] offset:32
	;; [unrolled: 1-line block ×10, first 2 shown]
	ds_write_b128 v61, v[18:21]
	v_mov_b32_e32 v58, v9
	s_waitcnt lgkmcnt(0)
	s_barrier
	buffer_gl0_inv
	ds_read_b128 v[9:12], v61
	v_mad_u64_u32 v[6:7], null, 0x70, s0, v[32:33]
	ds_read_b128 v[13:16], v61 offset:16
	ds_read_b128 v[17:20], v61 offset:32
	;; [unrolled: 1-line block ×8, first 2 shown]
	v_mad_u64_u32 v[0:1], null, s0, 48, v[32:33]
	v_mad_u64_u32 v[68:69], null, 0x70, s1, v[7:8]
	;; [unrolled: 1-line block ×3, first 2 shown]
	ds_read_b128 v[54:57], v61 offset:144
	ds_read_b128 v[58:61], v61 offset:160
	v_mad_u64_u32 v[2:3], null, 0x50, s0, v[32:33]
	v_mad_u64_u32 v[4:5], null, 0x60, s0, v[32:33]
	;; [unrolled: 1-line block ×3, first 2 shown]
	s_waitcnt lgkmcnt(10)
	v_mul_f64 v[70:71], s[54:55], v[11:12]
	v_mul_f64 v[72:73], s[54:55], v[9:10]
	s_waitcnt lgkmcnt(9)
	v_mul_f64 v[74:75], s[58:59], v[15:16]
	v_mul_f64 v[76:77], s[58:59], v[13:14]
	;; [unrolled: 3-line block ×11, first 2 shown]
	v_fma_f64 v[9:10], s[52:53], v[9:10], v[70:71]
	v_fma_f64 v[70:71], s[52:53], v[11:12], -v[72:73]
	v_fma_f64 v[72:73], s[56:57], v[13:14], v[74:75]
	v_fma_f64 v[74:75], s[56:57], v[15:16], -v[76:77]
	;; [unrolled: 2-line block ×11, first 2 shown]
	v_mul_f64 v[10:11], v[9:10], s[26:27]
	v_mul_f64 v[12:13], v[70:71], s[26:27]
	;; [unrolled: 1-line block ×22, first 2 shown]
	v_mad_u64_u32 v[62:63], null, s1, 48, v[1:2]
	v_mad_u64_u32 v[63:64], null, 0x50, s1, v[3:4]
	;; [unrolled: 1-line block ×4, first 2 shown]
	v_add_co_u32 v66, vcc_lo, v32, s24
	v_add_co_ci_u32_e32 v67, vcc_lo, s25, v33, vcc_lo
	v_add_co_u32 v71, vcc_lo, v32, s20
	v_mov_b32_e32 v1, v62
	v_add_co_ci_u32_e32 v72, vcc_lo, s21, v33, vcc_lo
	v_mov_b32_e32 v3, v63
	v_mov_b32_e32 v5, v64
	;; [unrolled: 1-line block ×5, first 2 shown]
	global_store_dwordx4 v[32:33], v[10:13], off
	global_store_dwordx4 v[34:35], v[14:17], off
	;; [unrolled: 1-line block ×11, first 2 shown]
.LBB0_2:
	s_endpgm
	.section	.rodata,"a",@progbits
	.p2align	6, 0x0
	.amdhsa_kernel bluestein_single_back_len11_dim1_dp_op_CI_CI
		.amdhsa_group_segment_fixed_size 22528
		.amdhsa_private_segment_fixed_size 0
		.amdhsa_kernarg_size 104
		.amdhsa_user_sgpr_count 6
		.amdhsa_user_sgpr_private_segment_buffer 1
		.amdhsa_user_sgpr_dispatch_ptr 0
		.amdhsa_user_sgpr_queue_ptr 0
		.amdhsa_user_sgpr_kernarg_segment_ptr 1
		.amdhsa_user_sgpr_dispatch_id 0
		.amdhsa_user_sgpr_flat_scratch_init 0
		.amdhsa_user_sgpr_private_segment_size 0
		.amdhsa_wavefront_size32 1
		.amdhsa_uses_dynamic_stack 0
		.amdhsa_system_sgpr_private_segment_wavefront_offset 0
		.amdhsa_system_sgpr_workgroup_id_x 1
		.amdhsa_system_sgpr_workgroup_id_y 0
		.amdhsa_system_sgpr_workgroup_id_z 0
		.amdhsa_system_sgpr_workgroup_info 0
		.amdhsa_system_vgpr_workitem_id 0
		.amdhsa_next_free_vgpr 253
		.amdhsa_next_free_sgpr 100
		.amdhsa_reserve_vcc 1
		.amdhsa_reserve_flat_scratch 0
		.amdhsa_float_round_mode_32 0
		.amdhsa_float_round_mode_16_64 0
		.amdhsa_float_denorm_mode_32 3
		.amdhsa_float_denorm_mode_16_64 3
		.amdhsa_dx10_clamp 1
		.amdhsa_ieee_mode 1
		.amdhsa_fp16_overflow 0
		.amdhsa_workgroup_processor_mode 1
		.amdhsa_memory_ordered 1
		.amdhsa_forward_progress 0
		.amdhsa_shared_vgpr_count 0
		.amdhsa_exception_fp_ieee_invalid_op 0
		.amdhsa_exception_fp_denorm_src 0
		.amdhsa_exception_fp_ieee_div_zero 0
		.amdhsa_exception_fp_ieee_overflow 0
		.amdhsa_exception_fp_ieee_underflow 0
		.amdhsa_exception_fp_ieee_inexact 0
		.amdhsa_exception_int_div_zero 0
	.end_amdhsa_kernel
	.text
.Lfunc_end0:
	.size	bluestein_single_back_len11_dim1_dp_op_CI_CI, .Lfunc_end0-bluestein_single_back_len11_dim1_dp_op_CI_CI
                                        ; -- End function
	.section	.AMDGPU.csdata,"",@progbits
; Kernel info:
; codeLenInByte = 7992
; NumSgprs: 102
; NumVgprs: 253
; ScratchSize: 0
; MemoryBound: 0
; FloatMode: 240
; IeeeMode: 1
; LDSByteSize: 22528 bytes/workgroup (compile time only)
; SGPRBlocks: 12
; VGPRBlocks: 31
; NumSGPRsForWavesPerEU: 102
; NumVGPRsForWavesPerEU: 253
; Occupancy: 4
; WaveLimiterHint : 1
; COMPUTE_PGM_RSRC2:SCRATCH_EN: 0
; COMPUTE_PGM_RSRC2:USER_SGPR: 6
; COMPUTE_PGM_RSRC2:TRAP_HANDLER: 0
; COMPUTE_PGM_RSRC2:TGID_X_EN: 1
; COMPUTE_PGM_RSRC2:TGID_Y_EN: 0
; COMPUTE_PGM_RSRC2:TGID_Z_EN: 0
; COMPUTE_PGM_RSRC2:TIDIG_COMP_CNT: 0
	.text
	.p2alignl 6, 3214868480
	.fill 48, 4, 3214868480
	.type	__hip_cuid_b63e0c43123f4454,@object ; @__hip_cuid_b63e0c43123f4454
	.section	.bss,"aw",@nobits
	.globl	__hip_cuid_b63e0c43123f4454
__hip_cuid_b63e0c43123f4454:
	.byte	0                               ; 0x0
	.size	__hip_cuid_b63e0c43123f4454, 1

	.ident	"AMD clang version 19.0.0git (https://github.com/RadeonOpenCompute/llvm-project roc-6.4.0 25133 c7fe45cf4b819c5991fe208aaa96edf142730f1d)"
	.section	".note.GNU-stack","",@progbits
	.addrsig
	.addrsig_sym __hip_cuid_b63e0c43123f4454
	.amdgpu_metadata
---
amdhsa.kernels:
  - .args:
      - .actual_access:  read_only
        .address_space:  global
        .offset:         0
        .size:           8
        .value_kind:     global_buffer
      - .actual_access:  read_only
        .address_space:  global
        .offset:         8
        .size:           8
        .value_kind:     global_buffer
      - .actual_access:  read_only
        .address_space:  global
        .offset:         16
        .size:           8
        .value_kind:     global_buffer
      - .actual_access:  read_only
        .address_space:  global
        .offset:         24
        .size:           8
        .value_kind:     global_buffer
      - .actual_access:  read_only
        .address_space:  global
        .offset:         32
        .size:           8
        .value_kind:     global_buffer
      - .offset:         40
        .size:           8
        .value_kind:     by_value
      - .address_space:  global
        .offset:         48
        .size:           8
        .value_kind:     global_buffer
      - .address_space:  global
        .offset:         56
        .size:           8
        .value_kind:     global_buffer
      - .address_space:  global
        .offset:         64
        .size:           8
        .value_kind:     global_buffer
      - .address_space:  global
        .offset:         72
        .size:           8
        .value_kind:     global_buffer
      - .offset:         80
        .size:           4
        .value_kind:     by_value
      - .address_space:  global
        .offset:         88
        .size:           8
        .value_kind:     global_buffer
      - .address_space:  global
        .offset:         96
        .size:           8
        .value_kind:     global_buffer
    .group_segment_fixed_size: 22528
    .kernarg_segment_align: 8
    .kernarg_segment_size: 104
    .language:       OpenCL C
    .language_version:
      - 2
      - 0
    .max_flat_workgroup_size: 128
    .name:           bluestein_single_back_len11_dim1_dp_op_CI_CI
    .private_segment_fixed_size: 0
    .sgpr_count:     102
    .sgpr_spill_count: 2
    .symbol:         bluestein_single_back_len11_dim1_dp_op_CI_CI.kd
    .uniform_work_group_size: 1
    .uses_dynamic_stack: false
    .vgpr_count:     253
    .vgpr_spill_count: 0
    .wavefront_size: 32
    .workgroup_processor_mode: 1
amdhsa.target:   amdgcn-amd-amdhsa--gfx1030
amdhsa.version:
  - 1
  - 2
...

	.end_amdgpu_metadata
